;; amdgpu-corpus repo=ROCm/rocFFT kind=compiled arch=gfx1201 opt=O3
	.text
	.amdgcn_target "amdgcn-amd-amdhsa--gfx1201"
	.amdhsa_code_object_version 6
	.protected	fft_rtc_back_len880_factors_2_2_2_2_11_5_wgs_176_tpt_88_halfLds_half_ip_CI_unitstride_sbrr_R2C_dirReg ; -- Begin function fft_rtc_back_len880_factors_2_2_2_2_11_5_wgs_176_tpt_88_halfLds_half_ip_CI_unitstride_sbrr_R2C_dirReg
	.globl	fft_rtc_back_len880_factors_2_2_2_2_11_5_wgs_176_tpt_88_halfLds_half_ip_CI_unitstride_sbrr_R2C_dirReg
	.p2align	8
	.type	fft_rtc_back_len880_factors_2_2_2_2_11_5_wgs_176_tpt_88_halfLds_half_ip_CI_unitstride_sbrr_R2C_dirReg,@function
fft_rtc_back_len880_factors_2_2_2_2_11_5_wgs_176_tpt_88_halfLds_half_ip_CI_unitstride_sbrr_R2C_dirReg: ; @fft_rtc_back_len880_factors_2_2_2_2_11_5_wgs_176_tpt_88_halfLds_half_ip_CI_unitstride_sbrr_R2C_dirReg
; %bb.0:
	s_clause 0x2
	s_load_b128 s[4:7], s[0:1], 0x0
	s_load_b64 s[8:9], s[0:1], 0x50
	s_load_b64 s[10:11], s[0:1], 0x18
	v_mul_u32_u24_e32 v1, 0x2e9, v0
	v_mov_b32_e32 v3, 0
	s_delay_alu instid0(VALU_DEP_2) | instskip(SKIP_2) | instid1(VALU_DEP_4)
	v_lshrrev_b32_e32 v7, 16, v1
	v_mov_b32_e32 v1, 0
	v_mov_b32_e32 v2, 0
	;; [unrolled: 1-line block ×3, first 2 shown]
	s_delay_alu instid0(VALU_DEP_4) | instskip(SKIP_2) | instid1(VALU_DEP_1)
	v_lshl_add_u32 v5, ttmp9, 1, v7
	s_wait_kmcnt 0x0
	v_cmp_lt_u64_e64 s2, s[6:7], 2
	s_and_b32 vcc_lo, exec_lo, s2
	s_cbranch_vccnz .LBB0_8
; %bb.1:
	s_load_b64 s[2:3], s[0:1], 0x10
	v_mov_b32_e32 v1, 0
	v_mov_b32_e32 v2, 0
	s_add_nc_u64 s[12:13], s[10:11], 8
	s_mov_b64 s[14:15], 1
	s_wait_kmcnt 0x0
	s_add_nc_u64 s[16:17], s[2:3], 8
	s_mov_b32 s3, 0
.LBB0_2:                                ; =>This Inner Loop Header: Depth=1
	s_load_b64 s[18:19], s[16:17], 0x0
                                        ; implicit-def: $vgpr11_vgpr12
	s_mov_b32 s2, exec_lo
	s_wait_kmcnt 0x0
	v_or_b32_e32 v4, s19, v6
	s_delay_alu instid0(VALU_DEP_1)
	v_cmpx_ne_u64_e32 0, v[3:4]
	s_wait_alu 0xfffe
	s_xor_b32 s20, exec_lo, s2
	s_cbranch_execz .LBB0_4
; %bb.3:                                ;   in Loop: Header=BB0_2 Depth=1
	s_cvt_f32_u32 s2, s18
	s_cvt_f32_u32 s21, s19
	s_sub_nc_u64 s[24:25], 0, s[18:19]
	s_wait_alu 0xfffe
	s_delay_alu instid0(SALU_CYCLE_1) | instskip(SKIP_1) | instid1(SALU_CYCLE_2)
	s_fmamk_f32 s2, s21, 0x4f800000, s2
	s_wait_alu 0xfffe
	v_s_rcp_f32 s2, s2
	s_delay_alu instid0(TRANS32_DEP_1) | instskip(SKIP_1) | instid1(SALU_CYCLE_2)
	s_mul_f32 s2, s2, 0x5f7ffffc
	s_wait_alu 0xfffe
	s_mul_f32 s21, s2, 0x2f800000
	s_wait_alu 0xfffe
	s_delay_alu instid0(SALU_CYCLE_2) | instskip(SKIP_1) | instid1(SALU_CYCLE_2)
	s_trunc_f32 s21, s21
	s_wait_alu 0xfffe
	s_fmamk_f32 s2, s21, 0xcf800000, s2
	s_cvt_u32_f32 s23, s21
	s_wait_alu 0xfffe
	s_delay_alu instid0(SALU_CYCLE_1) | instskip(SKIP_1) | instid1(SALU_CYCLE_2)
	s_cvt_u32_f32 s22, s2
	s_wait_alu 0xfffe
	s_mul_u64 s[26:27], s[24:25], s[22:23]
	s_wait_alu 0xfffe
	s_mul_hi_u32 s29, s22, s27
	s_mul_i32 s28, s22, s27
	s_mul_hi_u32 s2, s22, s26
	s_mul_i32 s30, s23, s26
	s_wait_alu 0xfffe
	s_add_nc_u64 s[28:29], s[2:3], s[28:29]
	s_mul_hi_u32 s21, s23, s26
	s_mul_hi_u32 s31, s23, s27
	s_add_co_u32 s2, s28, s30
	s_wait_alu 0xfffe
	s_add_co_ci_u32 s2, s29, s21
	s_mul_i32 s26, s23, s27
	s_add_co_ci_u32 s27, s31, 0
	s_wait_alu 0xfffe
	s_add_nc_u64 s[26:27], s[2:3], s[26:27]
	s_wait_alu 0xfffe
	v_add_co_u32 v4, s2, s22, s26
	s_delay_alu instid0(VALU_DEP_1) | instskip(SKIP_1) | instid1(VALU_DEP_1)
	s_cmp_lg_u32 s2, 0
	s_add_co_ci_u32 s23, s23, s27
	v_readfirstlane_b32 s22, v4
	s_wait_alu 0xfffe
	s_delay_alu instid0(VALU_DEP_1)
	s_mul_u64 s[24:25], s[24:25], s[22:23]
	s_wait_alu 0xfffe
	s_mul_hi_u32 s27, s22, s25
	s_mul_i32 s26, s22, s25
	s_mul_hi_u32 s2, s22, s24
	s_mul_i32 s28, s23, s24
	s_wait_alu 0xfffe
	s_add_nc_u64 s[26:27], s[2:3], s[26:27]
	s_mul_hi_u32 s21, s23, s24
	s_mul_hi_u32 s22, s23, s25
	s_wait_alu 0xfffe
	s_add_co_u32 s2, s26, s28
	s_add_co_ci_u32 s2, s27, s21
	s_mul_i32 s24, s23, s25
	s_add_co_ci_u32 s25, s22, 0
	s_wait_alu 0xfffe
	s_add_nc_u64 s[24:25], s[2:3], s[24:25]
	s_wait_alu 0xfffe
	v_add_co_u32 v4, s2, v4, s24
	s_delay_alu instid0(VALU_DEP_1) | instskip(SKIP_1) | instid1(VALU_DEP_1)
	s_cmp_lg_u32 s2, 0
	s_add_co_ci_u32 s2, s23, s25
	v_mul_hi_u32 v14, v5, v4
	s_wait_alu 0xfffe
	v_mad_co_u64_u32 v[8:9], null, v5, s2, 0
	v_mad_co_u64_u32 v[10:11], null, v6, v4, 0
	;; [unrolled: 1-line block ×3, first 2 shown]
	s_delay_alu instid0(VALU_DEP_3) | instskip(SKIP_1) | instid1(VALU_DEP_4)
	v_add_co_u32 v4, vcc_lo, v14, v8
	s_wait_alu 0xfffd
	v_add_co_ci_u32_e32 v8, vcc_lo, 0, v9, vcc_lo
	s_delay_alu instid0(VALU_DEP_2) | instskip(SKIP_1) | instid1(VALU_DEP_2)
	v_add_co_u32 v4, vcc_lo, v4, v10
	s_wait_alu 0xfffd
	v_add_co_ci_u32_e32 v4, vcc_lo, v8, v11, vcc_lo
	s_wait_alu 0xfffd
	v_add_co_ci_u32_e32 v8, vcc_lo, 0, v13, vcc_lo
	s_delay_alu instid0(VALU_DEP_2) | instskip(SKIP_1) | instid1(VALU_DEP_2)
	v_add_co_u32 v4, vcc_lo, v4, v12
	s_wait_alu 0xfffd
	v_add_co_ci_u32_e32 v10, vcc_lo, 0, v8, vcc_lo
	s_delay_alu instid0(VALU_DEP_2) | instskip(SKIP_1) | instid1(VALU_DEP_3)
	v_mul_lo_u32 v11, s19, v4
	v_mad_co_u64_u32 v[8:9], null, s18, v4, 0
	v_mul_lo_u32 v12, s18, v10
	s_delay_alu instid0(VALU_DEP_2) | instskip(NEXT) | instid1(VALU_DEP_2)
	v_sub_co_u32 v8, vcc_lo, v5, v8
	v_add3_u32 v9, v9, v12, v11
	s_delay_alu instid0(VALU_DEP_1) | instskip(SKIP_1) | instid1(VALU_DEP_1)
	v_sub_nc_u32_e32 v11, v6, v9
	s_wait_alu 0xfffd
	v_subrev_co_ci_u32_e64 v11, s2, s19, v11, vcc_lo
	v_add_co_u32 v12, s2, v4, 2
	s_wait_alu 0xf1ff
	v_add_co_ci_u32_e64 v13, s2, 0, v10, s2
	v_sub_co_u32 v14, s2, v8, s18
	v_sub_co_ci_u32_e32 v9, vcc_lo, v6, v9, vcc_lo
	s_wait_alu 0xf1ff
	v_subrev_co_ci_u32_e64 v11, s2, 0, v11, s2
	s_delay_alu instid0(VALU_DEP_3) | instskip(NEXT) | instid1(VALU_DEP_3)
	v_cmp_le_u32_e32 vcc_lo, s18, v14
	v_cmp_eq_u32_e64 s2, s19, v9
	s_wait_alu 0xfffd
	v_cndmask_b32_e64 v14, 0, -1, vcc_lo
	v_cmp_le_u32_e32 vcc_lo, s19, v11
	s_wait_alu 0xfffd
	v_cndmask_b32_e64 v15, 0, -1, vcc_lo
	v_cmp_le_u32_e32 vcc_lo, s18, v8
	;; [unrolled: 3-line block ×3, first 2 shown]
	s_wait_alu 0xfffd
	v_cndmask_b32_e64 v16, 0, -1, vcc_lo
	v_cmp_eq_u32_e32 vcc_lo, s19, v11
	s_wait_alu 0xf1ff
	s_delay_alu instid0(VALU_DEP_2)
	v_cndmask_b32_e64 v8, v16, v8, s2
	s_wait_alu 0xfffd
	v_cndmask_b32_e32 v11, v15, v14, vcc_lo
	v_add_co_u32 v14, vcc_lo, v4, 1
	s_wait_alu 0xfffd
	v_add_co_ci_u32_e32 v15, vcc_lo, 0, v10, vcc_lo
	s_delay_alu instid0(VALU_DEP_3) | instskip(SKIP_1) | instid1(VALU_DEP_2)
	v_cmp_ne_u32_e32 vcc_lo, 0, v11
	s_wait_alu 0xfffd
	v_cndmask_b32_e32 v9, v15, v13, vcc_lo
	v_cndmask_b32_e32 v11, v14, v12, vcc_lo
	v_cmp_ne_u32_e32 vcc_lo, 0, v8
	s_wait_alu 0xfffd
	s_delay_alu instid0(VALU_DEP_2)
	v_dual_cndmask_b32 v12, v10, v9 :: v_dual_cndmask_b32 v11, v4, v11
.LBB0_4:                                ;   in Loop: Header=BB0_2 Depth=1
	s_wait_alu 0xfffe
	s_and_not1_saveexec_b32 s2, s20
	s_cbranch_execz .LBB0_6
; %bb.5:                                ;   in Loop: Header=BB0_2 Depth=1
	v_cvt_f32_u32_e32 v4, s18
	s_sub_co_i32 s20, 0, s18
	v_mov_b32_e32 v12, v3
	s_delay_alu instid0(VALU_DEP_2) | instskip(NEXT) | instid1(TRANS32_DEP_1)
	v_rcp_iflag_f32_e32 v4, v4
	v_mul_f32_e32 v4, 0x4f7ffffe, v4
	s_delay_alu instid0(VALU_DEP_1) | instskip(SKIP_1) | instid1(VALU_DEP_1)
	v_cvt_u32_f32_e32 v4, v4
	s_wait_alu 0xfffe
	v_mul_lo_u32 v8, s20, v4
	s_delay_alu instid0(VALU_DEP_1) | instskip(NEXT) | instid1(VALU_DEP_1)
	v_mul_hi_u32 v8, v4, v8
	v_add_nc_u32_e32 v4, v4, v8
	s_delay_alu instid0(VALU_DEP_1) | instskip(NEXT) | instid1(VALU_DEP_1)
	v_mul_hi_u32 v4, v5, v4
	v_mul_lo_u32 v8, v4, s18
	s_delay_alu instid0(VALU_DEP_1) | instskip(NEXT) | instid1(VALU_DEP_1)
	v_sub_nc_u32_e32 v8, v5, v8
	v_subrev_nc_u32_e32 v10, s18, v8
	v_cmp_le_u32_e32 vcc_lo, s18, v8
	s_wait_alu 0xfffd
	s_delay_alu instid0(VALU_DEP_2) | instskip(NEXT) | instid1(VALU_DEP_1)
	v_dual_cndmask_b32 v8, v8, v10 :: v_dual_add_nc_u32 v9, 1, v4
	v_cndmask_b32_e32 v4, v4, v9, vcc_lo
	s_delay_alu instid0(VALU_DEP_2) | instskip(NEXT) | instid1(VALU_DEP_2)
	v_cmp_le_u32_e32 vcc_lo, s18, v8
	v_add_nc_u32_e32 v9, 1, v4
	s_wait_alu 0xfffd
	s_delay_alu instid0(VALU_DEP_1)
	v_cndmask_b32_e32 v11, v4, v9, vcc_lo
.LBB0_6:                                ;   in Loop: Header=BB0_2 Depth=1
	s_wait_alu 0xfffe
	s_or_b32 exec_lo, exec_lo, s2
	s_load_b64 s[20:21], s[12:13], 0x0
	v_mul_lo_u32 v4, v12, s18
	v_mul_lo_u32 v10, v11, s19
	v_mad_co_u64_u32 v[8:9], null, v11, s18, 0
	s_add_nc_u64 s[14:15], s[14:15], 1
	s_add_nc_u64 s[12:13], s[12:13], 8
	s_wait_alu 0xfffe
	v_cmp_ge_u64_e64 s2, s[14:15], s[6:7]
	s_add_nc_u64 s[16:17], s[16:17], 8
	s_delay_alu instid0(VALU_DEP_2) | instskip(NEXT) | instid1(VALU_DEP_3)
	v_add3_u32 v4, v9, v10, v4
	v_sub_co_u32 v5, vcc_lo, v5, v8
	s_wait_alu 0xfffd
	s_delay_alu instid0(VALU_DEP_2) | instskip(SKIP_3) | instid1(VALU_DEP_2)
	v_sub_co_ci_u32_e32 v4, vcc_lo, v6, v4, vcc_lo
	s_and_b32 vcc_lo, exec_lo, s2
	s_wait_kmcnt 0x0
	v_mul_lo_u32 v6, s21, v5
	v_mul_lo_u32 v4, s20, v4
	v_mad_co_u64_u32 v[1:2], null, s20, v5, v[1:2]
	s_delay_alu instid0(VALU_DEP_1)
	v_add3_u32 v2, v6, v2, v4
	s_wait_alu 0xfffe
	s_cbranch_vccnz .LBB0_9
; %bb.7:                                ;   in Loop: Header=BB0_2 Depth=1
	v_dual_mov_b32 v5, v11 :: v_dual_mov_b32 v6, v12
	s_branch .LBB0_2
.LBB0_8:
	v_dual_mov_b32 v12, v6 :: v_dual_mov_b32 v11, v5
.LBB0_9:
	s_lshl_b64 s[2:3], s[6:7], 3
	v_mul_hi_u32 v3, 0x2e8ba2f, v0
	s_wait_alu 0xfffe
	s_add_nc_u64 s[2:3], s[10:11], s[2:3]
	s_load_b64 s[6:7], s[0:1], 0x20
	s_load_b64 s[2:3], s[2:3], 0x0
	v_and_b32_e32 v5, 1, v7
	s_delay_alu instid0(VALU_DEP_2) | instskip(NEXT) | instid1(VALU_DEP_2)
	v_mul_u32_u24_e32 v3, 0x58, v3
	v_cmp_eq_u32_e64 s0, 1, v5
	s_delay_alu instid0(VALU_DEP_2) | instskip(NEXT) | instid1(VALU_DEP_1)
	v_sub_nc_u32_e32 v0, v0, v3
	v_add_nc_u32_e32 v10, 0xb0, v0
	v_add_nc_u32_e32 v8, 0x108, v0
	s_wait_kmcnt 0x0
	v_cmp_gt_u64_e32 vcc_lo, s[6:7], v[11:12]
	v_mul_lo_u32 v6, s2, v12
	v_mul_lo_u32 v7, s3, v11
	v_mad_co_u64_u32 v[3:4], null, s2, v11, v[1:2]
	v_cmp_le_u64_e64 s1, s[6:7], v[11:12]
	v_add_nc_u32_e32 v2, 0x58, v0
	s_delay_alu instid0(VALU_DEP_3) | instskip(SKIP_1) | instid1(VALU_DEP_4)
	v_add3_u32 v4, v7, v4, v6
	v_add_nc_u32_e32 v6, 0x160, v0
	s_and_saveexec_b32 s2, s1
	s_wait_alu 0xfffe
	s_xor_b32 s1, exec_lo, s2
; %bb.10:
	v_add_nc_u32_e32 v2, 0x58, v0
	v_add_nc_u32_e32 v10, 0xb0, v0
	;; [unrolled: 1-line block ×4, first 2 shown]
; %bb.11:
	s_wait_alu 0xfffe
	s_or_saveexec_b32 s1, s1
	v_cndmask_b32_e64 v1, 0, 0x371, s0
	v_lshlrev_b64_e32 v[4:5], 2, v[3:4]
	v_lshlrev_b32_e32 v11, 2, v0
	s_delay_alu instid0(VALU_DEP_3)
	v_lshlrev_b32_e32 v12, 2, v1
	s_wait_alu 0xfffe
	s_xor_b32 exec_lo, exec_lo, s1
	s_cbranch_execz .LBB0_13
; %bb.12:
	v_mov_b32_e32 v1, 0
	s_delay_alu instid0(VALU_DEP_1) | instskip(SKIP_3) | instid1(VALU_DEP_2)
	v_lshlrev_b64_e32 v[13:14], 2, v[0:1]
	v_add_co_u32 v1, s0, s8, v4
	s_wait_alu 0xf1ff
	v_add_co_ci_u32_e64 v3, s0, s9, v5, s0
	v_add_co_u32 v13, s0, v1, v13
	s_wait_alu 0xf1ff
	s_delay_alu instid0(VALU_DEP_2)
	v_add_co_ci_u32_e64 v14, s0, v3, v14, s0
	s_clause 0x9
	global_load_b32 v1, v[13:14], off
	global_load_b32 v3, v[13:14], off offset:352
	global_load_b32 v7, v[13:14], off offset:704
	;; [unrolled: 1-line block ×9, first 2 shown]
	v_add3_u32 v14, 0, v12, v11
	s_delay_alu instid0(VALU_DEP_1)
	v_add_nc_u32_e32 v20, 0x200, v14
	v_add_nc_u32_e32 v21, 0x400, v14
	;; [unrolled: 1-line block ×4, first 2 shown]
	s_wait_loadcnt 0x8
	ds_store_2addr_b32 v14, v1, v3 offset1:88
	s_wait_loadcnt 0x6
	ds_store_2addr_b32 v20, v7, v9 offset0:48 offset1:136
	s_wait_loadcnt 0x4
	ds_store_2addr_b32 v21, v15, v16 offset0:96 offset1:184
	s_wait_loadcnt 0x2
	ds_store_2addr_b32 v22, v17, v18 offset0:16 offset1:104
	s_wait_loadcnt 0x0
	ds_store_2addr_b32 v23, v19, v13 offset0:64 offset1:152
.LBB0_13:
	s_or_b32 exec_lo, exec_lo, s1
	v_add3_u32 v1, 0, v11, v12
	v_add_nc_u32_e32 v25, 0, v12
	global_wb scope:SCOPE_SE
	s_wait_dscnt 0x0
	s_barrier_signal -1
	s_barrier_wait -1
	v_add_nc_u32_e32 v22, 0x600, v1
	v_add_nc_u32_e32 v24, v25, v11
	;; [unrolled: 1-line block ×4, first 2 shown]
	global_inv scope:SCOPE_SE
	ds_load_2addr_b32 v[13:14], v22 offset0:56 offset1:144
	ds_load_b32 v3, v24
	ds_load_2addr_b32 v[15:16], v1 offset0:88 offset1:176
	ds_load_2addr_b32 v[17:18], v29 offset0:104 offset1:192
	;; [unrolled: 1-line block ×3, first 2 shown]
	ds_load_b32 v7, v1 offset:3168
	v_and_b32_e32 v23, 1, v0
	v_add_nc_u32_e32 v9, v1, v11
	v_lshl_add_u32 v27, v2, 3, v25
	v_lshl_add_u32 v26, v10, 3, v25
	;; [unrolled: 1-line block ×4, first 2 shown]
	global_wb scope:SCOPE_SE
	s_wait_dscnt 0x0
	s_barrier_signal -1
	s_barrier_wait -1
	global_inv scope:SCOPE_SE
	v_lshlrev_b32_e32 v31, 1, v10
	v_lshlrev_b32_e32 v32, 1, v8
	;; [unrolled: 1-line block ×3, first 2 shown]
	v_and_b32_e32 v37, 3, v0
	v_cmp_gt_u32_e64 s0, 0x50, v0
	v_pk_add_f16 v13, v3, v13 neg_lo:[0,1] neg_hi:[0,1]
	v_pk_add_f16 v14, v15, v14 neg_lo:[0,1] neg_hi:[0,1]
	;; [unrolled: 1-line block ×5, first 2 shown]
	v_pk_fma_f16 v3, v3, 2.0, v13 op_sel_hi:[1,0,1] neg_lo:[0,0,1] neg_hi:[0,0,1]
	v_pk_fma_f16 v15, v15, 2.0, v14 op_sel_hi:[1,0,1] neg_lo:[0,0,1] neg_hi:[0,0,1]
	;; [unrolled: 1-line block ×5, first 2 shown]
	ds_store_2addr_b32 v9, v3, v13 offset1:1
	ds_store_2addr_b32 v27, v15, v14 offset1:1
	;; [unrolled: 1-line block ×5, first 2 shown]
	v_lshlrev_b32_e32 v3, 2, v23
	global_wb scope:SCOPE_SE
	s_wait_dscnt 0x0
	s_barrier_signal -1
	s_barrier_wait -1
	global_inv scope:SCOPE_SE
	global_load_b32 v18, v3, s[4:5]
	v_lshlrev_b32_e32 v3, 2, v10
	v_lshlrev_b32_e32 v9, 2, v8
	;; [unrolled: 1-line block ×5, first 2 shown]
	v_sub_nc_u32_e32 v7, v26, v3
	v_sub_nc_u32_e32 v26, v28, v9
	;; [unrolled: 1-line block ×4, first 2 shown]
	ds_load_b32 v27, v24
	ds_load_b32 v28, v7
	;; [unrolled: 1-line block ×5, first 2 shown]
	ds_load_b32 v35, v1 offset:3168
	ds_load_2addr_b32 v[14:15], v29 offset0:104 offset1:192
	ds_load_2addr_b32 v[16:17], v22 offset0:56 offset1:144
	v_lshlrev_b32_e32 v20, 1, v2
	v_and_or_b32 v38, 0xfc, v19, v23
	v_and_or_b32 v40, 0x3fc, v31, v23
	;; [unrolled: 1-line block ×3, first 2 shown]
	v_lshlrev_b32_e32 v42, 2, v37
	v_and_or_b32 v39, 0x1fc, v20, v23
	v_and_or_b32 v23, 0x3fc, v36, v23
	v_lshl_add_u32 v38, v38, 2, v25
	v_lshl_add_u32 v40, v40, 2, v25
	;; [unrolled: 1-line block ×5, first 2 shown]
	global_wb scope:SCOPE_SE
	s_wait_loadcnt_dscnt 0x0
	s_barrier_signal -1
	s_barrier_wait -1
	global_inv scope:SCOPE_SE
	v_pk_mul_f16 v47, v18, v16 op_sel:[0,1]
	v_pk_mul_f16 v46, v18, v17 op_sel:[0,1]
	;; [unrolled: 1-line block ×5, first 2 shown]
	v_pk_fma_f16 v52, v18, v16, v47 op_sel:[0,0,1] op_sel_hi:[1,1,0]
	v_pk_fma_f16 v16, v18, v16, v47 op_sel:[0,0,1] op_sel_hi:[1,0,0] neg_lo:[1,0,0] neg_hi:[1,0,0]
	v_pk_fma_f16 v51, v18, v17, v46 op_sel:[0,0,1] op_sel_hi:[1,1,0]
	v_pk_fma_f16 v17, v18, v17, v46 op_sel:[0,0,1] op_sel_hi:[1,0,0] neg_lo:[1,0,0] neg_hi:[1,0,0]
	;; [unrolled: 2-line block ×5, first 2 shown]
	v_bfi_b32 v16, 0xffff, v52, v16
	v_bfi_b32 v17, 0xffff, v51, v17
	;; [unrolled: 1-line block ×5, first 2 shown]
	v_pk_add_f16 v16, v27, v16 neg_lo:[0,1] neg_hi:[0,1]
	v_pk_add_f16 v17, v34, v17 neg_lo:[0,1] neg_hi:[0,1]
	v_pk_add_f16 v14, v28, v14 neg_lo:[0,1] neg_hi:[0,1]
	v_pk_add_f16 v15, v30, v15 neg_lo:[0,1] neg_hi:[0,1]
	v_pk_add_f16 v18, v33, v18 neg_lo:[0,1] neg_hi:[0,1]
	v_pk_fma_f16 v27, v27, 2.0, v16 op_sel_hi:[1,0,1] neg_lo:[0,0,1] neg_hi:[0,0,1]
	v_pk_fma_f16 v34, v34, 2.0, v17 op_sel_hi:[1,0,1] neg_lo:[0,0,1] neg_hi:[0,0,1]
	;; [unrolled: 1-line block ×5, first 2 shown]
	ds_store_2addr_b32 v38, v27, v16 offset1:2
	ds_store_2addr_b32 v39, v34, v17 offset1:2
	;; [unrolled: 1-line block ×5, first 2 shown]
	global_wb scope:SCOPE_SE
	s_wait_dscnt 0x0
	s_barrier_signal -1
	s_barrier_wait -1
	global_inv scope:SCOPE_SE
	global_load_b32 v18, v42, s[4:5] offset:8
	ds_load_b32 v23, v7
	ds_load_b32 v27, v26
	;; [unrolled: 1-line block ×4, first 2 shown]
	ds_load_b32 v33, v1 offset:3168
	ds_load_2addr_b32 v[14:15], v29 offset0:104 offset1:192
	ds_load_b32 v34, v24
	ds_load_2addr_b32 v[16:17], v22 offset0:56 offset1:144
	v_and_b32_e32 v35, 7, v0
	v_and_or_b32 v38, 0xf8, v19, v37
	v_and_or_b32 v39, 0x1f8, v20, v37
	;; [unrolled: 1-line block ×5, first 2 shown]
	v_lshlrev_b32_e32 v42, 2, v35
	v_lshl_add_u32 v38, v38, 2, v25
	v_lshl_add_u32 v39, v39, 2, v25
	;; [unrolled: 1-line block ×5, first 2 shown]
	global_wb scope:SCOPE_SE
	s_wait_loadcnt_dscnt 0x0
	s_barrier_signal -1
	s_barrier_wait -1
	global_inv scope:SCOPE_SE
	v_and_or_b32 v19, 0xf0, v19, v35
	v_and_or_b32 v20, 0x1f0, v20, v35
	v_pk_mul_f16 v47, v18, v16 op_sel:[0,1]
	v_pk_mul_f16 v46, v18, v17 op_sel:[0,1]
	;; [unrolled: 1-line block ×5, first 2 shown]
	v_pk_fma_f16 v52, v18, v16, v47 op_sel:[0,0,1] op_sel_hi:[1,1,0]
	v_pk_fma_f16 v16, v18, v16, v47 op_sel:[0,0,1] op_sel_hi:[1,0,0] neg_lo:[1,0,0] neg_hi:[1,0,0]
	v_pk_fma_f16 v51, v18, v17, v46 op_sel:[0,0,1] op_sel_hi:[1,1,0]
	v_pk_fma_f16 v17, v18, v17, v46 op_sel:[0,0,1] op_sel_hi:[1,0,0] neg_lo:[1,0,0] neg_hi:[1,0,0]
	;; [unrolled: 2-line block ×5, first 2 shown]
	v_bfi_b32 v16, 0xffff, v52, v16
	v_bfi_b32 v17, 0xffff, v51, v17
	;; [unrolled: 1-line block ×5, first 2 shown]
	v_pk_add_f16 v16, v34, v16 neg_lo:[0,1] neg_hi:[0,1]
	v_pk_add_f16 v17, v30, v17 neg_lo:[0,1] neg_hi:[0,1]
	;; [unrolled: 1-line block ×5, first 2 shown]
	v_pk_fma_f16 v33, v34, 2.0, v16 op_sel_hi:[1,0,1] neg_lo:[0,0,1] neg_hi:[0,0,1]
	v_pk_fma_f16 v30, v30, 2.0, v17 op_sel_hi:[1,0,1] neg_lo:[0,0,1] neg_hi:[0,0,1]
	;; [unrolled: 1-line block ×5, first 2 shown]
	ds_store_2addr_b32 v38, v33, v16 offset1:4
	ds_store_2addr_b32 v39, v30, v17 offset1:4
	;; [unrolled: 1-line block ×5, first 2 shown]
	global_wb scope:SCOPE_SE
	s_wait_dscnt 0x0
	s_barrier_signal -1
	s_barrier_wait -1
	global_inv scope:SCOPE_SE
	global_load_b32 v18, v42, s[4:5] offset:24
	ds_load_b32 v23, v7
	ds_load_b32 v27, v26
	ds_load_b32 v28, v9
	ds_load_b32 v30, v1 offset:3168
	ds_load_2addr_b32 v[14:15], v29 offset0:104 offset1:192
	ds_load_b32 v33, v3
	ds_load_2addr_b32 v[16:17], v22 offset0:56 offset1:144
	ds_load_b32 v34, v24
	v_and_or_b32 v22, 0x3f0, v31, v35
	v_and_or_b32 v31, 0x3f0, v32, v35
	;; [unrolled: 1-line block ×3, first 2 shown]
	v_lshl_add_u32 v37, v19, 2, v25
	v_lshl_add_u32 v38, v20, 2, v25
	v_lshl_add_u32 v39, v22, 2, v25
	v_lshl_add_u32 v31, v31, 2, v25
	v_lshl_add_u32 v32, v32, 2, v25
	global_wb scope:SCOPE_SE
	s_wait_loadcnt_dscnt 0x0
	s_barrier_signal -1
	s_barrier_wait -1
	global_inv scope:SCOPE_SE
                                        ; implicit-def: $vgpr44
	v_pk_mul_f16 v19, v18, v30 op_sel:[0,1]
	v_pk_mul_f16 v20, v18, v15 op_sel:[0,1]
	;; [unrolled: 1-line block ×5, first 2 shown]
	v_pk_fma_f16 v40, v18, v30, v19 op_sel:[0,0,1] op_sel_hi:[1,1,0]
	v_pk_fma_f16 v19, v18, v30, v19 op_sel:[0,0,1] op_sel_hi:[1,0,0] neg_lo:[1,0,0] neg_hi:[1,0,0]
	v_pk_fma_f16 v30, v18, v15, v20 op_sel:[0,0,1] op_sel_hi:[1,1,0]
	v_pk_fma_f16 v15, v18, v15, v20 op_sel:[0,0,1] op_sel_hi:[1,0,0] neg_lo:[1,0,0] neg_hi:[1,0,0]
	;; [unrolled: 2-line block ×5, first 2 shown]
	v_bfi_b32 v18, 0xffff, v40, v19
	v_bfi_b32 v15, 0xffff, v30, v15
	;; [unrolled: 1-line block ×5, first 2 shown]
	v_pk_add_f16 v20, v28, v18 neg_lo:[0,1] neg_hi:[0,1]
	v_pk_add_f16 v14, v27, v15 neg_lo:[0,1] neg_hi:[0,1]
	;; [unrolled: 1-line block ×5, first 2 shown]
	v_pk_fma_f16 v15, v28, 2.0, v20 op_sel_hi:[1,0,1] neg_lo:[0,0,1] neg_hi:[0,0,1]
	v_pk_fma_f16 v17, v27, 2.0, v14 op_sel_hi:[1,0,1] neg_lo:[0,0,1] neg_hi:[0,0,1]
	v_pk_fma_f16 v19, v23, 2.0, v16 op_sel_hi:[1,0,1] neg_lo:[0,0,1] neg_hi:[0,0,1]
	v_pk_fma_f16 v23, v33, 2.0, v18 op_sel_hi:[1,0,1] neg_lo:[0,0,1] neg_hi:[0,0,1]
	v_pk_fma_f16 v27, v34, 2.0, v22 op_sel_hi:[1,0,1] neg_lo:[0,0,1] neg_hi:[0,0,1]
	v_lshrrev_b32_e32 v35, 16, v20
	v_lshrrev_b32_e32 v36, 16, v14
	;; [unrolled: 1-line block ×4, first 2 shown]
	ds_store_2addr_b32 v37, v27, v22 offset1:8
	ds_store_2addr_b32 v38, v23, v18 offset1:8
	;; [unrolled: 1-line block ×5, first 2 shown]
	v_lshrrev_b32_e32 v33, 16, v15
	v_lshrrev_b32_e32 v37, 16, v17
	;; [unrolled: 1-line block ×6, first 2 shown]
	global_wb scope:SCOPE_SE
	s_wait_dscnt 0x0
	s_barrier_signal -1
	s_barrier_wait -1
	global_inv scope:SCOPE_SE
	s_and_saveexec_b32 s1, s0
	s_cbranch_execz .LBB0_15
; %bb.14:
	v_add_nc_u32_e32 v18, 0xa00, v1
	v_add_nc_u32_e32 v19, 0x200, v1
	ds_load_b32 v27, v24
	ds_load_2addr_b32 v[14:15], v29 offset0:48 offset1:128
	ds_load_2addr_b32 v[22:23], v1 offset0:80 offset1:160
	;; [unrolled: 1-line block ×5, first 2 shown]
	s_wait_dscnt 0x5
	v_lshrrev_b32_e32 v28, 16, v27
	s_wait_dscnt 0x4
	v_lshrrev_b32_e32 v33, 16, v15
	;; [unrolled: 2-line block ×3, first 2 shown]
	v_lshrrev_b32_e32 v38, 16, v23
	s_wait_dscnt 0x2
	v_lshrrev_b32_e32 v34, 16, v16
	v_lshrrev_b32_e32 v37, 16, v17
	s_wait_dscnt 0x1
	v_lshrrev_b32_e32 v35, 16, v20
	;; [unrolled: 3-line block ×3, first 2 shown]
	v_lshrrev_b32_e32 v42, 16, v19
	v_lshrrev_b32_e32 v36, 16, v14
.LBB0_15:
	s_wait_alu 0xfffe
	s_or_b32 exec_lo, exec_lo, s1
	global_wb scope:SCOPE_SE
	s_barrier_signal -1
	s_barrier_wait -1
	global_inv scope:SCOPE_SE
	s_and_saveexec_b32 s1, s0
	s_cbranch_execz .LBB0_17
; %bb.16:
	v_and_b32_e32 v29, 15, v0
	s_delay_alu instid0(VALU_DEP_1) | instskip(NEXT) | instid1(VALU_DEP_1)
	v_mul_u32_u24_e32 v30, 10, v29
	v_lshlrev_b32_e32 v30, 2, v30
	s_clause 0x2
	global_load_b128 v[45:48], v30, s[4:5] offset:56
	global_load_b128 v[49:52], v30, s[4:5] offset:72
	global_load_b64 v[53:54], v30, s[4:5] offset:88
	v_lshrrev_b32_e32 v30, 4, v0
	s_delay_alu instid0(VALU_DEP_1) | instskip(NEXT) | instid1(VALU_DEP_1)
	v_mul_u32_u24_e32 v30, 0xb0, v30
	v_or_b32_e32 v29, v30, v29
	s_delay_alu instid0(VALU_DEP_1) | instskip(NEXT) | instid1(VALU_DEP_1)
	v_lshlrev_b32_e32 v29, 2, v29
	v_add3_u32 v12, 0, v29, v12
	s_wait_loadcnt 0x2
	v_lshrrev_b32_e32 v30, 16, v45
	v_lshrrev_b32_e32 v31, 16, v46
	s_wait_loadcnt 0x0
	v_lshrrev_b32_e32 v43, 16, v54
	v_lshrrev_b32_e32 v39, 16, v48
	;; [unrolled: 1-line block ×4, first 2 shown]
	v_mul_f16_e32 v60, v41, v30
	v_mul_f16_e32 v29, v44, v43
	;; [unrolled: 1-line block ×4, first 2 shown]
	v_lshrrev_b32_e32 v32, 16, v47
	v_lshrrev_b32_e32 v57, 16, v51
	;; [unrolled: 1-line block ×4, first 2 shown]
	v_mul_f16_e32 v63, v38, v31
	v_mul_f16_e32 v64, v23, v31
	;; [unrolled: 1-line block ×7, first 2 shown]
	v_fmac_f16_e32 v60, v22, v45
	v_fmac_f16_e32 v29, v21, v54
	v_fma_f16 v21, v44, v54, -v61
	v_fma_f16 v22, v41, v45, -v62
	v_mul_f16_e32 v30, v35, v59
	v_mul_f16_e32 v65, v40, v32
	;; [unrolled: 1-line block ×9, first 2 shown]
	v_fmac_f16_e32 v63, v23, v46
	v_fma_f16 v23, v38, v46, -v64
	v_fmac_f16_e32 v43, v16, v49
	v_fmac_f16_e32 v39, v17, v50
	v_fma_f16 v17, v34, v49, -v55
	v_add_f16_e32 v34, v22, v21
	v_sub_f16_e32 v46, v22, v21
	v_add_f16_e32 v49, v27, v60
	v_add_f16_e32 v22, v28, v22
	v_fmac_f16_e32 v30, v20, v53
	v_fmac_f16_e32 v65, v18, v47
	;; [unrolled: 1-line block ×5, first 2 shown]
	v_fma_f16 v20, v35, v53, -v59
	v_fma_f16 v15, v33, v52, -v58
	;; [unrolled: 1-line block ×6, first 2 shown]
	v_add_f16_e32 v49, v49, v63
	v_add_f16_e32 v22, v22, v23
	v_sub_f16_e32 v33, v60, v29
	v_sub_f16_e32 v35, v63, v30
	;; [unrolled: 1-line block ×5, first 2 shown]
	v_add_f16_e32 v36, v23, v20
	v_add_f16_e32 v38, v18, v15
	;; [unrolled: 1-line block ×4, first 2 shown]
	v_sub_f16_e32 v50, v18, v15
	v_add_f16_e32 v18, v22, v18
	v_add_f16_e32 v22, v49, v65
	;; [unrolled: 1-line block ×3, first 2 shown]
	v_sub_f16_e32 v48, v23, v20
	v_sub_f16_e32 v52, v19, v14
	;; [unrolled: 1-line block ×3, first 2 shown]
	v_mul_f16_e32 v56, 0xbb47, v33
	v_mul_f16_e32 v57, 0xba0c, v35
	;; [unrolled: 1-line block ×30, first 2 shown]
	v_add_f16_e32 v22, v22, v67
	v_add_f16_e32 v18, v18, v19
	;; [unrolled: 1-line block ×6, first 2 shown]
	v_mul_f16_e32 v62, 0xba0c, v48
	v_mul_f16_e32 v72, 0x3482, v48
	;; [unrolled: 1-line block ×20, first 2 shown]
	v_fmamk_f16 v102, v34, 0x36a6, v56
	v_fmamk_f16 v103, v36, 0xb93d, v57
	v_fmamk_f16 v104, v38, 0xbbad, v58
	v_fmamk_f16 v105, v41, 0xb08e, v59
	v_fmamk_f16 v106, v44, 0x3abb, v60
	v_fma_f16 v107, v45, 0x36a6, -v61
	v_fmamk_f16 v108, v34, 0xb08e, v64
	v_fmamk_f16 v109, v36, 0xbbad, v66
	v_fmamk_f16 v110, v38, 0x36a6, v68
	v_fmamk_f16 v111, v41, 0x3abb, v69
	v_fmamk_f16 v112, v44, 0xb93d, v70
	v_fma_f16 v113, v45, 0xb08e, -v71
	;; [unrolled: 6-line block ×3, first 2 shown]
	v_fmamk_f16 v122, v34, 0xbbad, v80
	v_fmamk_f16 v123, v36, 0x3abb, v81
	v_fma_f16 v80, v34, 0xbbad, -v80
	v_fma_f16 v73, v34, 0xb93d, -v73
	v_fma_f16 v64, v34, 0xb08e, -v64
	v_fma_f16 v34, v34, 0x36a6, -v56
	v_fmamk_f16 v56, v38, 0xb93d, v82
	v_fma_f16 v81, v36, 0x3abb, -v81
	v_fma_f16 v74, v36, 0xb08e, -v74
	v_fma_f16 v66, v36, 0xbbad, -v66
	v_fma_f16 v36, v36, 0xb93d, -v57
	v_fmamk_f16 v57, v41, 0x36a6, v83
	v_fma_f16 v82, v38, 0xb93d, -v82
	v_fma_f16 v75, v38, 0x3abb, -v75
	v_fma_f16 v68, v38, 0x36a6, -v68
	v_fma_f16 v38, v38, 0xbbad, -v58
	v_fmamk_f16 v58, v44, 0xb08e, v84
	v_fma_f16 v83, v41, 0x36a6, -v83
	v_fma_f16 v76, v41, 0xbbad, -v76
	v_fma_f16 v69, v41, 0x3abb, -v69
	v_fma_f16 v41, v41, 0xb08e, -v59
	v_fma_f16 v59, v45, 0xbbad, -v85
	v_fma_f16 v84, v44, 0xb08e, -v84
	;; [unrolled: 1-line block ×4, first 2 shown]
	v_fmac_f16_e32 v71, 0xb08e, v45
	v_fma_f16 v44, v44, 0x3abb, -v60
	v_fmac_f16_e32 v61, 0x36a6, v45
	v_fmamk_f16 v60, v33, 0x3853, v87
	v_fmac_f16_e32 v87, 0xb853, v33
	v_fmac_f16_e32 v85, 0xbbad, v45
	;; [unrolled: 1-line block ×3, first 2 shown]
	v_fmamk_f16 v33, v35, 0x3b47, v88
	v_fmac_f16_e32 v88, 0xbb47, v35
	v_fmamk_f16 v35, v37, 0x3beb, v89
	v_fmac_f16_e32 v89, 0xbbeb, v37
	;; [unrolled: 2-line block ×4, first 2 shown]
	v_fmamk_f16 v42, v45, 0x3abb, v46
	v_add_f16_e32 v22, v22, v43
	v_add_f16_e32 v17, v18, v17
	v_fma_f16 v114, v47, 0xbbad, -v72
	v_fma_f16 v121, v47, 0xb08e, -v79
	;; [unrolled: 1-line block ×4, first 2 shown]
	v_fmac_f16_e32 v86, 0x3abb, v47
	v_fmac_f16_e32 v79, 0xb08e, v47
	;; [unrolled: 1-line block ×3, first 2 shown]
	v_fma_f16 v124, v47, 0xb93d, -v62
	v_fmac_f16_e32 v62, 0xb93d, v47
	v_fmamk_f16 v125, v47, 0x36a6, v48
	v_fma_f16 v47, v47, 0x36a6, -v48
	v_fma_f16 v48, v51, 0xb93d, -v23
	v_fmac_f16_e32 v23, 0xb93d, v51
	v_fma_f16 v49, v51, 0x3abb, -v92
	v_fmac_f16_e32 v92, 0x3abb, v51
	;; [unrolled: 2-line block ×4, first 2 shown]
	v_fmamk_f16 v127, v51, 0xb08e, v50
	v_fma_f16 v50, v51, 0xb08e, -v50
	v_fma_f16 v51, v53, 0x36a6, -v97
	v_fmac_f16_e32 v97, 0x36a6, v53
	v_fma_f16 v128, v53, 0xbbad, -v96
	v_fmac_f16_e32 v96, 0xbbad, v53
	;; [unrolled: 2-line block ×4, first 2 shown]
	v_fma_f16 v131, 0xb93d, v53, v52
	v_fma_f16 v52, v53, 0xb93d, -v52
	v_fma_f16 v53, v55, 0xb08e, -v101
	v_fmac_f16_e32 v101, 0xb08e, v55
	v_fma_f16 v132, v55, 0x36a6, -v100
	v_fmac_f16_e32 v100, 0x36a6, v55
	;; [unrolled: 2-line block ×4, first 2 shown]
	v_fma_f16 v135, 0xbbad, v55, v54
	v_fma_f16 v54, v55, 0xbbad, -v54
	v_add_f16_e32 v19, v28, v102
	v_add_f16_e32 v55, v28, v108
	;; [unrolled: 1-line block ×66, first 2 shown]
	v_add_f16_e64 v38, v129, v45
	v_add_f16_e32 v39, v118, v47
	v_add_f16_e64 v42, v128, v49
	v_add_f16_e32 v45, v51, v46
	v_add_f16_e32 v46, v83, v48
	;; [unrolled: 1-line block ×7, first 2 shown]
	v_add_f16_e64 v27, v130, v28
	v_add_f16_e32 v28, v111, v43
	v_add_f16_e32 v43, v57, v55
	;; [unrolled: 1-line block ×6, first 2 shown]
	v_add_f16_e64 v35, v131, v35
	v_add_f16_e32 v22, v22, v30
	v_add_f16_e32 v14, v14, v20
	v_add_f16_e32 v16, v90, v17
	v_add_f16_e32 v17, v52, v18
	v_add_f16_e32 v32, v119, v39
	v_add_f16_e32 v39, v53, v45
	v_add_f16_e32 v41, v84, v46
	v_add_f16_e32 v45, v70, v49
	v_add_f16_e32 v46, v99, v50
	v_add_f16_e32 v34, v44, v34
	v_add_f16_e32 v36, v98, v36
	v_add_f16_e32 v18, v106, v19
	v_add_f16_e64 v19, v134, v27
	v_add_f16_e32 v27, v112, v28
	v_add_f16_e64 v28, v133, v38
	v_add_f16_e64 v37, v132, v42
	v_add_f16_e32 v38, v58, v43
	v_add_f16_e32 v23, v101, v23
	;; [unrolled: 1-line block ×5, first 2 shown]
	v_add_f16_e64 v15, v135, v35
	v_add_f16_e32 v22, v22, v29
	v_add_f16_e32 v14, v14, v21
	;; [unrolled: 1-line block ×4, first 2 shown]
	v_pack_b32_f16 v20, v36, v34
	v_pack_b32_f16 v30, v46, v45
	;; [unrolled: 1-line block ×11, first 2 shown]
	ds_store_2addr_b32 v12, v20, v30 offset0:32 offset1:48
	ds_store_2addr_b32 v12, v31, v23 offset0:64 offset1:80
	;; [unrolled: 1-line block ×4, first 2 shown]
	ds_store_2addr_b32 v12, v14, v15 offset1:16
	ds_store_b32 v12, v16 offset:640
.LBB0_17:
	s_wait_alu 0xfffe
	s_or_b32 exec_lo, exec_lo, s1
	v_dual_mov_b32 v12, 0 :: v_dual_add_nc_u32 v21, 0x600, v1
	global_wb scope:SCOPE_SE
	s_wait_dscnt 0x0
	s_barrier_signal -1
	s_barrier_wait -1
	v_lshlrev_b64_e32 v[15:16], 2, v[11:12]
	v_dual_mov_b32 v14, v12 :: v_dual_add_nc_u32 v31, 0x500, v1
	global_inv scope:SCOPE_SE
	v_add_nc_u32_e32 v32, 0x500, v3
	s_mov_b32 s1, exec_lo
	v_lshlrev_b64_e32 v[17:18], 2, v[13:14]
	v_add_co_u32 v15, s0, s4, v15
	s_wait_alu 0xf1ff
	v_add_co_ci_u32_e64 v16, s0, s5, v16, s0
	s_delay_alu instid0(VALU_DEP_3)
	v_add_co_u32 v17, s0, s4, v17
	global_load_b128 v[13:16], v[15:16], off offset:696
	s_wait_alu 0xf1ff
	v_add_co_ci_u32_e64 v18, s0, s5, v18, s0
	global_load_b128 v[17:20], v[17:18], off offset:696
	ds_load_b32 v23, v24
	ds_load_b32 v28, v26
	;; [unrolled: 1-line block ×3, first 2 shown]
	ds_load_b32 v30, v1 offset:3168
	ds_load_b32 v7, v7
	ds_load_b32 v9, v9
	v_add_nc_u32_e32 v26, 0x800, v1
	ds_load_2addr_b32 v[21:22], v21 offset0:56 offset1:144
	ds_load_2addr_b32 v[26:27], v26 offset0:104 offset1:192
	global_wb scope:SCOPE_SE
	s_wait_loadcnt_dscnt 0x0
	s_barrier_signal -1
	s_barrier_wait -1
	global_inv scope:SCOPE_SE
	v_lshrrev_b32_e32 v33, 16, v23
	v_lshrrev_b32_e32 v38, 16, v28
	v_lshrrev_b32_e32 v34, 16, v29
	v_lshrrev_b32_e32 v35, 16, v30
	v_lshrrev_b32_e32 v36, 16, v7
	v_lshrrev_b32_e32 v37, 16, v9
	v_lshrrev_b32_e32 v41, 16, v22
	v_lshrrev_b32_e32 v43, 16, v27
	v_lshrrev_b32_e32 v39, 16, v21
	v_lshrrev_b32_e32 v40, 16, v26
	v_lshrrev_b32_e32 v42, 16, v13
	v_lshrrev_b32_e32 v44, 16, v14
	v_lshrrev_b32_e32 v45, 16, v15
	v_lshrrev_b32_e32 v46, 16, v16
	s_delay_alu instid0(VALU_DEP_4)
	v_mul_f16_e32 v47, v42, v36
	v_mul_f16_e32 v42, v42, v7
	;; [unrolled: 1-line block ×8, first 2 shown]
	v_lshrrev_b32_e32 v51, 16, v17
	v_lshrrev_b32_e32 v52, 16, v18
	;; [unrolled: 1-line block ×4, first 2 shown]
	v_fmac_f16_e32 v47, v13, v7
	v_fma_f16 v7, v13, v36, -v42
	v_fmac_f16_e32 v48, v14, v9
	v_fma_f16 v9, v14, v37, -v44
	;; [unrolled: 2-line block ×4, first 2 shown]
	v_mul_f16_e32 v15, v51, v38
	v_mul_f16_e32 v16, v51, v28
	;; [unrolled: 1-line block ×8, first 2 shown]
	v_fmac_f16_e32 v15, v17, v28
	v_fma_f16 v16, v17, v38, -v16
	v_fmac_f16_e32 v22, v21, v18
	v_fma_f16 v17, v39, v18, -v27
	;; [unrolled: 2-line block ×4, first 2 shown]
	v_add_f16_e32 v20, v23, v47
	v_add_f16_e32 v21, v48, v49
	v_sub_f16_e32 v28, v47, v48
	v_sub_f16_e32 v30, v50, v49
	v_add_f16_e32 v35, v47, v50
	v_sub_f16_e32 v37, v48, v47
	v_sub_f16_e32 v38, v49, v50
	v_add_f16_e32 v39, v33, v7
	v_add_f16_e32 v40, v9, v13
	v_sub_f16_e32 v44, v7, v9
	v_sub_f16_e32 v45, v14, v13
	v_add_f16_e32 v46, v7, v14
	v_sub_f16_e32 v26, v7, v14
	v_sub_f16_e32 v42, v47, v50
	;; [unrolled: 1-line block ×5, first 2 shown]
	v_add_f16_e32 v20, v20, v48
	v_fma_f16 v21, -0.5, v21, v23
	v_add_f16_e32 v28, v28, v30
	v_fmac_f16_e32 v23, -0.5, v35
	v_add_f16_e32 v30, v37, v38
	v_add_f16_e32 v9, v39, v9
	v_fma_f16 v35, -0.5, v40, v33
	v_add_f16_e32 v37, v44, v45
	v_fmac_f16_e32 v33, -0.5, v46
	v_add_f16_e32 v38, v29, v15
	v_add_f16_e32 v39, v22, v36
	v_sub_f16_e32 v45, v15, v22
	v_sub_f16_e32 v46, v41, v36
	v_add_f16_e32 v52, v34, v16
	v_add_f16_e32 v53, v17, v18
	;; [unrolled: 1-line block ×5, first 2 shown]
	v_sub_f16_e32 v43, v48, v49
	v_sub_f16_e32 v40, v16, v19
	;; [unrolled: 1-line block ×8, first 2 shown]
	v_add_f16_e32 v20, v20, v49
	v_fmamk_f16 v49, v26, 0xbb9c, v21
	v_add_f16_e32 v9, v9, v13
	v_fmamk_f16 v13, v42, 0x3b9c, v35
	v_add_f16_e32 v22, v38, v22
	v_fma_f16 v38, -0.5, v39, v29
	v_add_f16_e32 v39, v45, v46
	v_add_f16_e32 v17, v52, v17
	v_fma_f16 v46, -0.5, v53, v34
	v_fmac_f16_e32 v21, 0x3b9c, v26
	v_fmamk_f16 v59, v27, 0x3b9c, v23
	v_fmac_f16_e32 v23, 0xbb9c, v27
	v_fmac_f16_e32 v29, -0.5, v47
	v_fmac_f16_e32 v34, -0.5, v57
	v_fmamk_f16 v60, v43, 0xbb9c, v33
	v_fmac_f16_e32 v33, 0x3b9c, v43
	v_fmac_f16_e32 v35, 0xbb9c, v42
	v_sub_f16_e32 v56, v19, v18
	v_sub_f16_e32 v58, v18, v19
	v_fmac_f16_e32 v49, 0xb8b4, v27
	v_add_f16_e32 v9, v9, v14
	v_fmac_f16_e32 v13, 0x38b4, v43
	v_add_f16_e32 v14, v22, v36
	v_fmamk_f16 v22, v40, 0xbb9c, v38
	v_add_f16_e32 v17, v17, v18
	v_fmamk_f16 v18, v15, 0x3b9c, v46
	v_sub_f16_e32 v51, v36, v41
	v_fmac_f16_e32 v21, 0x38b4, v27
	v_fmac_f16_e32 v59, 0xb8b4, v26
	;; [unrolled: 1-line block ×3, first 2 shown]
	v_fmamk_f16 v26, v44, 0x3b9c, v29
	v_fmac_f16_e32 v29, 0xbb9c, v44
	v_fmamk_f16 v27, v54, 0xbb9c, v34
	v_fmac_f16_e32 v34, 0x3b9c, v54
	v_fmac_f16_e32 v38, 0x3b9c, v40
	;; [unrolled: 1-line block ×6, first 2 shown]
	v_add_f16_e32 v47, v55, v56
	v_add_f16_e32 v20, v20, v50
	v_fmac_f16_e32 v49, 0x34f2, v28
	v_fmac_f16_e32 v13, 0x34f2, v37
	;; [unrolled: 1-line block ×4, first 2 shown]
	v_add_f16_e32 v45, v48, v51
	v_add_f16_e32 v16, v16, v58
	v_fmac_f16_e32 v26, 0xb8b4, v40
	v_fmac_f16_e32 v29, 0x38b4, v40
	;; [unrolled: 1-line block ×12, first 2 shown]
	v_add_f16_e32 v7, v14, v41
	v_add_f16_e32 v14, v17, v19
	v_pack_b32_f16 v9, v20, v9
	v_fmac_f16_e32 v22, 0x34f2, v39
	v_fmac_f16_e32 v18, 0x34f2, v47
	v_pack_b32_f16 v13, v49, v13
	v_fmac_f16_e32 v26, 0x34f2, v45
	v_fmac_f16_e32 v29, 0x34f2, v45
	;; [unrolled: 1-line block ×6, first 2 shown]
	v_pack_b32_f16 v15, v59, v60
	v_pack_b32_f16 v16, v23, v33
	;; [unrolled: 1-line block ×4, first 2 shown]
	ds_store_2addr_b32 v1, v9, v13 offset1:176
	v_pack_b32_f16 v9, v22, v18
	v_pack_b32_f16 v13, v26, v27
	;; [unrolled: 1-line block ×4, first 2 shown]
	ds_store_2addr_b32 v31, v15, v16 offset0:32 offset1:208
	ds_store_b32 v1, v17 offset:2816
	ds_store_2addr_b32 v3, v7, v9 offset1:176
	ds_store_2addr_b32 v32, v13, v14 offset0:32 offset1:208
	ds_store_b32 v3, v18 offset:2816
	global_wb scope:SCOPE_SE
	s_wait_dscnt 0x0
	s_barrier_signal -1
	s_barrier_wait -1
	global_inv scope:SCOPE_SE
	ds_load_b32 v3, v24
	v_sub_nc_u32_e32 v13, v25, v11
                                        ; implicit-def: $vgpr14
                                        ; implicit-def: $vgpr1
                                        ; implicit-def: $vgpr15
	v_cmpx_ne_u32_e32 0, v0
	s_wait_alu 0xfffe
	s_xor_b32 s1, exec_lo, s1
	s_cbranch_execz .LBB0_19
; %bb.18:
	v_mov_b32_e32 v1, v12
	ds_load_b32 v7, v13 offset:3520
	v_lshlrev_b64_e32 v[11:12], 2, v[0:1]
	s_delay_alu instid0(VALU_DEP_1) | instskip(SKIP_1) | instid1(VALU_DEP_2)
	v_add_co_u32 v11, s0, s4, v11
	s_wait_alu 0xf1ff
	v_add_co_ci_u32_e64 v12, s0, s5, v12, s0
	global_load_b32 v1, v[11:12], off offset:3512
	s_wait_dscnt 0x0
	v_pk_add_f16 v9, v3, v7 neg_lo:[0,1] neg_hi:[0,1]
	v_pk_add_f16 v3, v7, v3
	s_delay_alu instid0(VALU_DEP_1) | instskip(SKIP_1) | instid1(VALU_DEP_2)
	v_bfi_b32 v7, 0xffff, v9, v3
	v_bfi_b32 v3, 0xffff, v3, v9
	v_pk_mul_f16 v7, v7, 0.5 op_sel_hi:[1,0]
	s_delay_alu instid0(VALU_DEP_2) | instskip(SKIP_1) | instid1(VALU_DEP_2)
	v_pk_mul_f16 v11, v3, 0.5 op_sel_hi:[1,0]
	s_wait_loadcnt 0x0
	v_pk_mul_f16 v9, v1, v7 op_sel:[1,0]
	v_pk_mul_f16 v7, v1, v7 op_sel_hi:[0,1]
	s_delay_alu instid0(VALU_DEP_2)
	v_pk_fma_f16 v1, v3, 0.5, v9 op_sel_hi:[1,0,1]
	v_lshrrev_b32_e32 v3, 16, v11
	v_lshrrev_b32_e32 v12, 16, v9
	v_sub_f16_e32 v9, v11, v9
	v_lshrrev_b32_e32 v11, 16, v7
	v_pk_add_f16 v14, v1, v7 op_sel:[0,1] op_sel_hi:[1,0]
	v_pk_add_f16 v15, v1, v7 op_sel:[0,1] op_sel_hi:[1,0] neg_lo:[0,1] neg_hi:[0,1]
	v_sub_f16_e32 v3, v12, v3
	s_delay_alu instid0(VALU_DEP_4) | instskip(NEXT) | instid1(VALU_DEP_3)
	v_sub_f16_e32 v1, v9, v11
	v_bfi_b32 v14, 0xffff, v14, v15
	s_delay_alu instid0(VALU_DEP_3)
	v_sub_f16_e32 v15, v3, v7
                                        ; implicit-def: $vgpr3
.LBB0_19:
	s_wait_alu 0xfffe
	s_and_not1_saveexec_b32 s0, s1
	s_cbranch_execz .LBB0_21
; %bb.20:
	ds_load_u16 v7, v25 offset:1762
	s_wait_dscnt 0x1
	s_wait_alu 0xfffe
	v_alignbit_b32 v1, s0, v3, 16
	v_lshrrev_b32_e32 v9, 16, v3
	v_mov_b32_e32 v15, 0
	s_delay_alu instid0(VALU_DEP_3) | instskip(NEXT) | instid1(VALU_DEP_3)
	v_pk_add_f16 v11, v1, v3
	v_sub_f16_e32 v1, v3, v9
	s_delay_alu instid0(VALU_DEP_2)
	v_pack_b32_f16 v14, v11, 0
	s_wait_dscnt 0x0
	v_xor_b32_e32 v3, 0x8000, v7
	ds_store_b16 v25, v3 offset:1762
.LBB0_21:
	s_wait_alu 0xfffe
	s_or_b32 exec_lo, exec_lo, s0
	s_wait_dscnt 0x0
	v_mov_b32_e32 v3, 0
	s_delay_alu instid0(VALU_DEP_1) | instskip(SKIP_3) | instid1(VALU_DEP_4)
	v_lshlrev_b64_e32 v[11:12], 2, v[2:3]
	v_mov_b32_e32 v9, v3
	v_mov_b32_e32 v7, v3
	v_lshl_add_u32 v2, v2, 2, v25
	v_add_co_u32 v11, s0, s4, v11
	s_wait_alu 0xf1ff
	v_add_co_ci_u32_e64 v12, s0, s5, v12, s0
	global_load_b32 v16, v[11:12], off offset:3512
	v_mov_b32_e32 v11, v3
	s_delay_alu instid0(VALU_DEP_1) | instskip(SKIP_1) | instid1(VALU_DEP_2)
	v_lshlrev_b64_e32 v[11:12], 2, v[10:11]
	v_lshl_add_u32 v10, v10, 2, v25
	v_add_co_u32 v11, s0, s4, v11
	s_wait_alu 0xf1ff
	s_delay_alu instid0(VALU_DEP_3) | instskip(SKIP_3) | instid1(VALU_DEP_2)
	v_add_co_ci_u32_e64 v12, s0, s5, v12, s0
	global_load_b32 v17, v[11:12], off offset:3512
	v_lshlrev_b64_e32 v[11:12], 2, v[8:9]
	v_lshl_add_u32 v8, v8, 2, v25
	v_add_co_u32 v11, s0, s4, v11
	s_wait_alu 0xf1ff
	s_delay_alu instid0(VALU_DEP_3) | instskip(SKIP_3) | instid1(VALU_DEP_2)
	v_add_co_ci_u32_e64 v12, s0, s5, v12, s0
	global_load_b32 v9, v[11:12], off offset:3512
	v_lshlrev_b64_e32 v[11:12], 2, v[6:7]
	v_lshl_add_u32 v6, v6, 2, v25
	v_add_co_u32 v11, s0, s4, v11
	s_wait_alu 0xf1ff
	s_delay_alu instid0(VALU_DEP_3)
	v_add_co_ci_u32_e64 v12, s0, s5, v12, s0
	global_load_b32 v7, v[11:12], off offset:3512
	ds_store_b16 v13, v15 offset:3522
	ds_store_b32 v24, v14
	ds_store_b16 v13, v1 offset:3520
	ds_load_b32 v1, v2
	ds_load_b32 v11, v13 offset:3168
	s_wait_dscnt 0x0
	v_pk_add_f16 v12, v1, v11 neg_lo:[0,1] neg_hi:[0,1]
	v_pk_add_f16 v1, v1, v11
	s_delay_alu instid0(VALU_DEP_1) | instskip(SKIP_1) | instid1(VALU_DEP_2)
	v_bfi_b32 v11, 0xffff, v12, v1
	v_bfi_b32 v1, 0xffff, v1, v12
	v_pk_mul_f16 v11, v11, 0.5 op_sel_hi:[1,0]
	s_delay_alu instid0(VALU_DEP_2) | instskip(SKIP_1) | instid1(VALU_DEP_1)
	v_pk_mul_f16 v1, v1, 0.5 op_sel_hi:[1,0]
	s_wait_loadcnt 0x3
	v_pk_fma_f16 v12, v16, v11, v1 op_sel:[1,0,0]
	v_pk_mul_f16 v14, v16, v11 op_sel_hi:[0,1]
	v_pk_fma_f16 v15, v16, v11, v1 op_sel:[1,0,0] neg_lo:[1,0,0] neg_hi:[1,0,0]
	v_pk_fma_f16 v1, v16, v11, v1 op_sel:[1,0,0] neg_lo:[0,0,1] neg_hi:[0,0,1]
	s_delay_alu instid0(VALU_DEP_3) | instskip(SKIP_1) | instid1(VALU_DEP_4)
	v_pk_add_f16 v11, v12, v14 op_sel:[0,1] op_sel_hi:[1,0]
	v_pk_add_f16 v12, v12, v14 op_sel:[0,1] op_sel_hi:[1,0] neg_lo:[0,1] neg_hi:[0,1]
	v_pk_add_f16 v15, v15, v14 op_sel:[0,1] op_sel_hi:[1,0] neg_lo:[0,1] neg_hi:[0,1]
	s_delay_alu instid0(VALU_DEP_4) | instskip(NEXT) | instid1(VALU_DEP_3)
	v_pk_add_f16 v1, v1, v14 op_sel:[0,1] op_sel_hi:[1,0] neg_lo:[0,1] neg_hi:[0,1]
	v_bfi_b32 v11, 0xffff, v11, v12
	s_delay_alu instid0(VALU_DEP_2)
	v_bfi_b32 v1, 0xffff, v15, v1
	ds_store_b32 v2, v11
	ds_store_b32 v13, v1 offset:3168
	ds_load_b32 v1, v10
	ds_load_b32 v2, v13 offset:2816
	s_wait_dscnt 0x0
	v_pk_add_f16 v11, v1, v2 neg_lo:[0,1] neg_hi:[0,1]
	v_pk_add_f16 v1, v1, v2
	s_delay_alu instid0(VALU_DEP_1) | instskip(SKIP_1) | instid1(VALU_DEP_2)
	v_bfi_b32 v2, 0xffff, v11, v1
	v_bfi_b32 v1, 0xffff, v1, v11
	v_pk_mul_f16 v2, v2, 0.5 op_sel_hi:[1,0]
	s_delay_alu instid0(VALU_DEP_2) | instskip(SKIP_1) | instid1(VALU_DEP_2)
	v_pk_mul_f16 v1, v1, 0.5 op_sel_hi:[1,0]
	s_wait_loadcnt 0x2
	v_pk_mul_f16 v12, v17, v2 op_sel_hi:[0,1]
	s_delay_alu instid0(VALU_DEP_2) | instskip(SKIP_2) | instid1(VALU_DEP_3)
	v_pk_fma_f16 v11, v17, v2, v1 op_sel:[1,0,0]
	v_pk_fma_f16 v14, v17, v2, v1 op_sel:[1,0,0] neg_lo:[1,0,0] neg_hi:[1,0,0]
	v_pk_fma_f16 v1, v17, v2, v1 op_sel:[1,0,0] neg_lo:[0,0,1] neg_hi:[0,0,1]
	v_pk_add_f16 v2, v11, v12 op_sel:[0,1] op_sel_hi:[1,0]
	v_pk_add_f16 v11, v11, v12 op_sel:[0,1] op_sel_hi:[1,0] neg_lo:[0,1] neg_hi:[0,1]
	s_delay_alu instid0(VALU_DEP_4) | instskip(NEXT) | instid1(VALU_DEP_4)
	v_pk_add_f16 v14, v14, v12 op_sel:[0,1] op_sel_hi:[1,0] neg_lo:[0,1] neg_hi:[0,1]
	v_pk_add_f16 v1, v1, v12 op_sel:[0,1] op_sel_hi:[1,0] neg_lo:[0,1] neg_hi:[0,1]
	s_delay_alu instid0(VALU_DEP_3) | instskip(NEXT) | instid1(VALU_DEP_2)
	v_bfi_b32 v2, 0xffff, v2, v11
	v_bfi_b32 v1, 0xffff, v14, v1
	ds_store_b32 v10, v2
	ds_store_b32 v13, v1 offset:2816
	ds_load_b32 v1, v8
	ds_load_b32 v2, v13 offset:2464
	s_wait_dscnt 0x0
	v_pk_add_f16 v10, v1, v2 neg_lo:[0,1] neg_hi:[0,1]
	v_pk_add_f16 v1, v1, v2
	s_delay_alu instid0(VALU_DEP_1) | instskip(SKIP_1) | instid1(VALU_DEP_2)
	v_bfi_b32 v2, 0xffff, v10, v1
	v_bfi_b32 v1, 0xffff, v1, v10
	v_pk_mul_f16 v2, v2, 0.5 op_sel_hi:[1,0]
	s_delay_alu instid0(VALU_DEP_2) | instskip(SKIP_1) | instid1(VALU_DEP_2)
	v_pk_mul_f16 v1, v1, 0.5 op_sel_hi:[1,0]
	s_wait_loadcnt 0x1
	v_pk_mul_f16 v11, v9, v2 op_sel_hi:[0,1]
	s_delay_alu instid0(VALU_DEP_2) | instskip(SKIP_2) | instid1(VALU_DEP_3)
	v_pk_fma_f16 v10, v9, v2, v1 op_sel:[1,0,0]
	v_pk_fma_f16 v12, v9, v2, v1 op_sel:[1,0,0] neg_lo:[1,0,0] neg_hi:[1,0,0]
	v_pk_fma_f16 v1, v9, v2, v1 op_sel:[1,0,0] neg_lo:[0,0,1] neg_hi:[0,0,1]
	v_pk_add_f16 v2, v10, v11 op_sel:[0,1] op_sel_hi:[1,0]
	v_pk_add_f16 v9, v10, v11 op_sel:[0,1] op_sel_hi:[1,0] neg_lo:[0,1] neg_hi:[0,1]
	s_delay_alu instid0(VALU_DEP_4) | instskip(NEXT) | instid1(VALU_DEP_4)
	v_pk_add_f16 v10, v12, v11 op_sel:[0,1] op_sel_hi:[1,0] neg_lo:[0,1] neg_hi:[0,1]
	v_pk_add_f16 v1, v1, v11 op_sel:[0,1] op_sel_hi:[1,0] neg_lo:[0,1] neg_hi:[0,1]
	s_delay_alu instid0(VALU_DEP_3) | instskip(NEXT) | instid1(VALU_DEP_2)
	v_bfi_b32 v2, 0xffff, v2, v9
	;; [unrolled: 27-line block ×3, first 2 shown]
	v_bfi_b32 v1, 0xffff, v8, v1
	ds_store_b32 v6, v2
	ds_store_b32 v13, v1 offset:2112
	global_wb scope:SCOPE_SE
	s_wait_dscnt 0x0
	s_barrier_signal -1
	s_barrier_wait -1
	global_inv scope:SCOPE_SE
	s_and_saveexec_b32 s0, vcc_lo
	s_cbranch_execz .LBB0_24
; %bb.22:
	v_dual_mov_b32 v1, v3 :: v_dual_add_nc_u32 v2, 0x200, v24
	v_add_nc_u32_e32 v3, 0x400, v24
	v_add_nc_u32_e32 v14, 0x800, v24
	;; [unrolled: 1-line block ×3, first 2 shown]
	ds_load_2addr_b32 v[6:7], v24 offset1:88
	ds_load_2addr_b32 v[8:9], v2 offset0:48 offset1:136
	ds_load_2addr_b32 v[12:13], v3 offset0:96 offset1:184
	ds_load_2addr_b32 v[14:15], v14 offset0:16 offset1:104
	ds_load_2addr_b32 v[16:17], v16 offset0:64 offset1:152
	v_lshlrev_b64_e32 v[10:11], 2, v[0:1]
	v_add_co_u32 v1, vcc_lo, s8, v4
	s_wait_alu 0xfffd
	v_add_co_ci_u32_e32 v2, vcc_lo, s9, v5, vcc_lo
	s_delay_alu instid0(VALU_DEP_2) | instskip(SKIP_1) | instid1(VALU_DEP_2)
	v_add_co_u32 v3, vcc_lo, v1, v10
	s_wait_alu 0xfffd
	v_add_co_ci_u32_e32 v4, vcc_lo, v2, v11, vcc_lo
	v_cmp_eq_u32_e32 vcc_lo, 0x57, v0
	s_wait_dscnt 0x4
	s_clause 0x1
	global_store_b32 v[3:4], v6, off
	global_store_b32 v[3:4], v7, off offset:352
	s_wait_dscnt 0x3
	s_clause 0x1
	global_store_b32 v[3:4], v8, off offset:704
	global_store_b32 v[3:4], v9, off offset:1056
	s_wait_dscnt 0x2
	s_clause 0x1
	global_store_b32 v[3:4], v12, off offset:1408
	;; [unrolled: 4-line block ×4, first 2 shown]
	global_store_b32 v[3:4], v17, off offset:3168
	s_and_b32 exec_lo, exec_lo, vcc_lo
	s_cbranch_execz .LBB0_24
; %bb.23:
	ds_load_b32 v0, v24 offset:3172
	s_wait_dscnt 0x0
	global_store_b32 v[1:2], v0, off offset:3520
.LBB0_24:
	s_nop 0
	s_sendmsg sendmsg(MSG_DEALLOC_VGPRS)
	s_endpgm
	.section	.rodata,"a",@progbits
	.p2align	6, 0x0
	.amdhsa_kernel fft_rtc_back_len880_factors_2_2_2_2_11_5_wgs_176_tpt_88_halfLds_half_ip_CI_unitstride_sbrr_R2C_dirReg
		.amdhsa_group_segment_fixed_size 0
		.amdhsa_private_segment_fixed_size 0
		.amdhsa_kernarg_size 88
		.amdhsa_user_sgpr_count 2
		.amdhsa_user_sgpr_dispatch_ptr 0
		.amdhsa_user_sgpr_queue_ptr 0
		.amdhsa_user_sgpr_kernarg_segment_ptr 1
		.amdhsa_user_sgpr_dispatch_id 0
		.amdhsa_user_sgpr_private_segment_size 0
		.amdhsa_wavefront_size32 1
		.amdhsa_uses_dynamic_stack 0
		.amdhsa_enable_private_segment 0
		.amdhsa_system_sgpr_workgroup_id_x 1
		.amdhsa_system_sgpr_workgroup_id_y 0
		.amdhsa_system_sgpr_workgroup_id_z 0
		.amdhsa_system_sgpr_workgroup_info 0
		.amdhsa_system_vgpr_workitem_id 0
		.amdhsa_next_free_vgpr 136
		.amdhsa_next_free_sgpr 32
		.amdhsa_reserve_vcc 1
		.amdhsa_float_round_mode_32 0
		.amdhsa_float_round_mode_16_64 0
		.amdhsa_float_denorm_mode_32 3
		.amdhsa_float_denorm_mode_16_64 3
		.amdhsa_fp16_overflow 0
		.amdhsa_workgroup_processor_mode 1
		.amdhsa_memory_ordered 1
		.amdhsa_forward_progress 0
		.amdhsa_round_robin_scheduling 0
		.amdhsa_exception_fp_ieee_invalid_op 0
		.amdhsa_exception_fp_denorm_src 0
		.amdhsa_exception_fp_ieee_div_zero 0
		.amdhsa_exception_fp_ieee_overflow 0
		.amdhsa_exception_fp_ieee_underflow 0
		.amdhsa_exception_fp_ieee_inexact 0
		.amdhsa_exception_int_div_zero 0
	.end_amdhsa_kernel
	.text
.Lfunc_end0:
	.size	fft_rtc_back_len880_factors_2_2_2_2_11_5_wgs_176_tpt_88_halfLds_half_ip_CI_unitstride_sbrr_R2C_dirReg, .Lfunc_end0-fft_rtc_back_len880_factors_2_2_2_2_11_5_wgs_176_tpt_88_halfLds_half_ip_CI_unitstride_sbrr_R2C_dirReg
                                        ; -- End function
	.section	.AMDGPU.csdata,"",@progbits
; Kernel info:
; codeLenInByte = 9568
; NumSgprs: 34
; NumVgprs: 136
; ScratchSize: 0
; MemoryBound: 0
; FloatMode: 240
; IeeeMode: 1
; LDSByteSize: 0 bytes/workgroup (compile time only)
; SGPRBlocks: 4
; VGPRBlocks: 16
; NumSGPRsForWavesPerEU: 34
; NumVGPRsForWavesPerEU: 136
; Occupancy: 10
; WaveLimiterHint : 1
; COMPUTE_PGM_RSRC2:SCRATCH_EN: 0
; COMPUTE_PGM_RSRC2:USER_SGPR: 2
; COMPUTE_PGM_RSRC2:TRAP_HANDLER: 0
; COMPUTE_PGM_RSRC2:TGID_X_EN: 1
; COMPUTE_PGM_RSRC2:TGID_Y_EN: 0
; COMPUTE_PGM_RSRC2:TGID_Z_EN: 0
; COMPUTE_PGM_RSRC2:TIDIG_COMP_CNT: 0
	.text
	.p2alignl 7, 3214868480
	.fill 96, 4, 3214868480
	.type	__hip_cuid_f79d36bb389e15c4,@object ; @__hip_cuid_f79d36bb389e15c4
	.section	.bss,"aw",@nobits
	.globl	__hip_cuid_f79d36bb389e15c4
__hip_cuid_f79d36bb389e15c4:
	.byte	0                               ; 0x0
	.size	__hip_cuid_f79d36bb389e15c4, 1

	.ident	"AMD clang version 19.0.0git (https://github.com/RadeonOpenCompute/llvm-project roc-6.4.0 25133 c7fe45cf4b819c5991fe208aaa96edf142730f1d)"
	.section	".note.GNU-stack","",@progbits
	.addrsig
	.addrsig_sym __hip_cuid_f79d36bb389e15c4
	.amdgpu_metadata
---
amdhsa.kernels:
  - .args:
      - .actual_access:  read_only
        .address_space:  global
        .offset:         0
        .size:           8
        .value_kind:     global_buffer
      - .offset:         8
        .size:           8
        .value_kind:     by_value
      - .actual_access:  read_only
        .address_space:  global
        .offset:         16
        .size:           8
        .value_kind:     global_buffer
      - .actual_access:  read_only
        .address_space:  global
        .offset:         24
        .size:           8
        .value_kind:     global_buffer
      - .offset:         32
        .size:           8
        .value_kind:     by_value
      - .actual_access:  read_only
        .address_space:  global
        .offset:         40
        .size:           8
        .value_kind:     global_buffer
      - .actual_access:  read_only
        .address_space:  global
        .offset:         48
        .size:           8
        .value_kind:     global_buffer
      - .offset:         56
        .size:           4
        .value_kind:     by_value
      - .actual_access:  read_only
        .address_space:  global
        .offset:         64
        .size:           8
        .value_kind:     global_buffer
      - .actual_access:  read_only
        .address_space:  global
        .offset:         72
        .size:           8
        .value_kind:     global_buffer
      - .address_space:  global
        .offset:         80
        .size:           8
        .value_kind:     global_buffer
    .group_segment_fixed_size: 0
    .kernarg_segment_align: 8
    .kernarg_segment_size: 88
    .language:       OpenCL C
    .language_version:
      - 2
      - 0
    .max_flat_workgroup_size: 176
    .name:           fft_rtc_back_len880_factors_2_2_2_2_11_5_wgs_176_tpt_88_halfLds_half_ip_CI_unitstride_sbrr_R2C_dirReg
    .private_segment_fixed_size: 0
    .sgpr_count:     34
    .sgpr_spill_count: 0
    .symbol:         fft_rtc_back_len880_factors_2_2_2_2_11_5_wgs_176_tpt_88_halfLds_half_ip_CI_unitstride_sbrr_R2C_dirReg.kd
    .uniform_work_group_size: 1
    .uses_dynamic_stack: false
    .vgpr_count:     136
    .vgpr_spill_count: 0
    .wavefront_size: 32
    .workgroup_processor_mode: 1
amdhsa.target:   amdgcn-amd-amdhsa--gfx1201
amdhsa.version:
  - 1
  - 2
...

	.end_amdgpu_metadata
